;; amdgpu-corpus repo=zjin-lcf/HeCBench kind=compiled arch=gfx1201 opt=O3
	.amdgcn_target "amdgcn-amd-amdhsa--gfx1201"
	.amdhsa_code_object_version 6
	.text
	.protected	_Z20radixSortBlocksKeysKPjS_jj ; -- Begin function _Z20radixSortBlocksKeysKPjS_jj
	.globl	_Z20radixSortBlocksKeysKPjS_jj
	.p2align	8
	.type	_Z20radixSortBlocksKeysKPjS_jj,@function
_Z20radixSortBlocksKeysKPjS_jj:         ; @_Z20radixSortBlocksKeysKPjS_jj
; %bb.0:
	s_clause 0x2
	s_load_b32 s2, s[0:1], 0x24
	s_load_b128 s[4:7], s[0:1], 0x0
	s_load_b64 s[8:9], s[0:1], 0x10
	s_wait_kmcnt 0x0
	s_and_b32 s3, s2, 0xffff
	s_add_co_i32 s0, s9, s8
	v_mad_co_u64_u32 v[1:2], null, ttmp9, s3, v[0:1]
	s_cmp_ge_u32 s9, s0
	v_ashrrev_i32_e32 v2, 31, v1
	s_delay_alu instid0(VALU_DEP_1) | instskip(NEXT) | instid1(VALU_DEP_1)
	v_lshlrev_b64_e32 v[5:6], 4, v[1:2]
	v_add_co_u32 v1, vcc_lo, s4, v5
	s_delay_alu instid0(VALU_DEP_1)
	v_add_co_ci_u32_e64 v2, null, s5, v6, vcc_lo
	global_load_b128 v[1:4], v[1:2], off
	s_wait_loadcnt 0x0
	s_barrier_signal -1
	s_barrier_wait -1
	global_inv scope:SCOPE_SE
	s_cbranch_scc1 .LBB0_9
; %bb.1:
	s_mov_b64 s[0:1], src_shared_base
	s_wait_alu 0xfffe
	v_dual_mov_b32 v8, s1 :: v_dual_lshlrev_b32 v7, 1, v0
	v_dual_mov_b32 v10, s1 :: v_dual_and_b32 v21, 31, v0
	v_lshrrev_b32_e32 v22, 3, v0
	s_lshl_b32 s2, s3, 3
	s_mul_i32 s4, s3, 12
	s_delay_alu instid0(VALU_DEP_2) | instskip(SKIP_3) | instid1(VALU_DEP_4)
	v_sub_nc_u32_e32 v7, v7, v21
	v_cmp_eq_u32_e32 vcc_lo, 31, v21
	v_dual_mov_b32 v12, s1 :: v_dual_lshlrev_b32 v21, 2, v0
	v_dual_mov_b32 v23, 0 :: v_dual_and_b32 v22, 0x7c, v22
	v_dual_mov_b32 v14, s1 :: v_dual_lshlrev_b32 v7, 2, v7
	v_mov_b32_e32 v16, s1
	v_mov_b32_e32 v18, s1
	s_delay_alu instid0(VALU_DEP_3)
	v_dual_mov_b32 v20, s1 :: v_dual_add_nc_u32 v15, 0x70, v7
	s_add_co_i32 s1, s3, -1
	v_add_nc_u32_e32 v9, 0x80, v7
	v_add_nc_u32_e32 v11, 0x7c, v7
	;; [unrolled: 1-line block ×5, first 2 shown]
	v_cmp_gt_u32_e64 s0, 32, v0
	s_wait_alu 0xfffe
	v_cmp_eq_u32_e64 s1, s1, v0
	v_lshl_add_u32 v0, s3, 2, v21
	v_add_nc_u32_e32 v24, s2, v21
	v_add_nc_u32_e32 v25, s4, v21
	s_branch .LBB0_3
.LBB0_2:                                ;   in Loop: Header=BB0_3 Depth=1
	s_wait_alu 0xfffe
	s_or_b32 exec_lo, exec_lo, s2
	s_wait_loadcnt_dscnt 0x0
	s_barrier_signal -1
	s_barrier_wait -1
	global_inv scope:SCOPE_SE
	ds_load_b32 v33, v23 offset:2048
	v_add_nc_u32_e32 v34, v32, v29
	v_add_nc_u32_e32 v30, v32, v30
	v_cmp_eq_u32_e64 s2, 0, v29
	s_add_co_i32 s8, s8, -1
	s_add_co_i32 s9, s9, 1
	s_wait_alu 0xfffe
	s_cmp_eq_u32 s8, 0
	s_wait_dscnt 0x0
	v_add_nc_u32_e32 v33, v33, v21
	s_delay_alu instid0(VALU_DEP_1) | instskip(SKIP_3) | instid1(VALU_DEP_4)
	v_sub_nc_u32_e32 v35, v33, v34
	v_sub_nc_u32_e32 v36, v33, v32
	;; [unrolled: 1-line block ×4, first 2 shown]
	v_add_nc_u32_e32 v35, 1, v35
	s_delay_alu instid0(VALU_DEP_4) | instskip(SKIP_4) | instid1(VALU_DEP_3)
	v_cndmask_b32_e64 v29, v32, v36, s2
	v_cmp_eq_u32_e64 s2, 0, v27
	v_add_nc_u32_e32 v32, 2, v37
	v_add_nc_u32_e32 v33, 3, v33
	s_wait_alu 0xf1ff
	v_cndmask_b32_e64 v27, v34, v35, s2
	v_cmp_eq_u32_e64 s2, 0, v26
	v_and_b32_e32 v34, 3, v29
	v_and_b32_e32 v29, -4, v29
	s_wait_alu 0xf1ff
	s_delay_alu instid0(VALU_DEP_3) | instskip(SKIP_2) | instid1(VALU_DEP_3)
	v_cndmask_b32_e64 v26, v30, v32, s2
	v_cmp_eq_u32_e64 s2, 0, v28
	v_mul_u32_u24_e32 v30, s3, v34
	v_and_b32_e32 v32, 3, v26
	s_wait_alu 0xf1ff
	s_delay_alu instid0(VALU_DEP_3)
	v_cndmask_b32_e64 v28, v31, v33, s2
	v_and_b32_e32 v31, 3, v27
	v_and_b32_e32 v27, -4, v27
	v_and_b32_e32 v26, -4, v26
	v_mul_u32_u24_e32 v32, s3, v32
	v_and_b32_e32 v33, 3, v28
	v_mul_u32_u24_e32 v31, s3, v31
	v_and_b32_e32 v28, -4, v28
	v_lshl_add_u32 v29, v30, 2, v29
	v_lshl_add_u32 v26, v32, 2, v26
	v_mul_u32_u24_e32 v33, s3, v33
	v_lshl_add_u32 v27, v31, 2, v27
	s_delay_alu instid0(VALU_DEP_2)
	v_lshl_add_u32 v28, v33, 2, v28
	ds_store_b32 v29, v1
	ds_store_b32 v27, v2
	;; [unrolled: 1-line block ×4, first 2 shown]
	s_wait_loadcnt_dscnt 0x0
	s_barrier_signal -1
	s_barrier_wait -1
	global_inv scope:SCOPE_SE
	ds_load_b32 v1, v21
	ds_load_b32 v2, v0
	;; [unrolled: 1-line block ×4, first 2 shown]
	s_wait_loadcnt_dscnt 0x0
	s_barrier_signal -1
	s_barrier_wait -1
	global_inv scope:SCOPE_SE
	s_cbranch_scc1 .LBB0_9
.LBB0_3:                                ; =>This Inner Loop Header: Depth=1
	v_not_b32_e32 v26, v1
	v_not_b32_e32 v27, v2
	;; [unrolled: 1-line block ×4, first 2 shown]
	s_delay_alu instid0(VALU_DEP_4) | instskip(NEXT) | instid1(VALU_DEP_4)
	v_bfe_u32 v29, v26, s9, 1
	v_bfe_u32 v27, v27, s9, 1
	s_delay_alu instid0(VALU_DEP_4) | instskip(NEXT) | instid1(VALU_DEP_4)
	v_bfe_u32 v26, v28, s9, 1
	v_bfe_u32 v28, v31, s9, 1
	s_delay_alu instid0(VALU_DEP_3) | instskip(NEXT) | instid1(VALU_DEP_1)
	v_add_nc_u32_e32 v30, v27, v29
	v_add_nc_u32_e32 v31, v30, v26
	s_delay_alu instid0(VALU_DEP_1)
	v_add_nc_u32_e32 v32, v31, v28
	s_wait_loadcnt 0x0
	flat_store_b32 v[7:8], v23 scope:SCOPE_SYS
	s_wait_storecnt 0x0
	flat_store_b32 v[9:10], v32 scope:SCOPE_SYS
	s_wait_storecnt 0x0
	flat_load_b32 v33, v[11:12] scope:SCOPE_SYS
	s_wait_loadcnt 0x0
	flat_load_b32 v34, v[9:10] scope:SCOPE_SYS
	s_wait_loadcnt_dscnt 0x0
	v_add_nc_u32_e32 v33, v34, v33
	flat_store_b32 v[9:10], v33 scope:SCOPE_SYS
	s_wait_storecnt 0x0
	flat_load_b32 v33, v[13:14] scope:SCOPE_SYS
	s_wait_loadcnt 0x0
	flat_load_b32 v34, v[9:10] scope:SCOPE_SYS
	s_wait_loadcnt_dscnt 0x0
	v_add_nc_u32_e32 v33, v34, v33
	;; [unrolled: 7-line block ×5, first 2 shown]
	flat_store_b32 v[9:10], v33 scope:SCOPE_SYS
	s_wait_storecnt 0x0
	flat_load_b32 v33, v[9:10] scope:SCOPE_SYS
	s_wait_loadcnt_dscnt 0x0
	s_barrier_signal -1
	s_barrier_wait -1
	global_inv scope:SCOPE_SE
	s_and_saveexec_b32 s2, vcc_lo
; %bb.4:                                ;   in Loop: Header=BB0_3 Depth=1
	ds_store_b32 v22, v33
; %bb.5:                                ;   in Loop: Header=BB0_3 Depth=1
	s_wait_alu 0xfffe
	s_or_b32 exec_lo, exec_lo, s2
	s_wait_loadcnt_dscnt 0x0
	s_barrier_signal -1
	s_barrier_wait -1
	global_inv scope:SCOPE_SE
	s_and_saveexec_b32 s2, s0
	s_cbranch_execz .LBB0_7
; %bb.6:                                ;   in Loop: Header=BB0_3 Depth=1
	ds_load_b32 v34, v21
	s_wait_loadcnt 0x0
	flat_store_b32 v[7:8], v23 scope:SCOPE_SYS
	s_wait_storecnt_dscnt 0x1
	flat_store_b32 v[9:10], v34 scope:SCOPE_SYS
	s_wait_storecnt 0x0
	flat_load_b32 v35, v[11:12] scope:SCOPE_SYS
	s_wait_loadcnt 0x0
	flat_load_b32 v36, v[9:10] scope:SCOPE_SYS
	s_wait_loadcnt_dscnt 0x0
	v_add_nc_u32_e32 v35, v36, v35
	flat_store_b32 v[9:10], v35 scope:SCOPE_SYS
	s_wait_storecnt 0x0
	flat_load_b32 v35, v[13:14] scope:SCOPE_SYS
	s_wait_loadcnt 0x0
	flat_load_b32 v36, v[9:10] scope:SCOPE_SYS
	s_wait_loadcnt_dscnt 0x0
	v_add_nc_u32_e32 v35, v36, v35
	;; [unrolled: 7-line block ×3, first 2 shown]
	flat_store_b32 v[9:10], v35 scope:SCOPE_SYS
	s_wait_storecnt 0x0
	flat_load_b32 v35, v[9:10] scope:SCOPE_SYS
	s_wait_loadcnt_dscnt 0x0
	v_sub_nc_u32_e32 v34, v35, v34
	ds_store_b32 v21, v34
.LBB0_7:                                ;   in Loop: Header=BB0_3 Depth=1
	s_wait_alu 0xfffe
	s_or_b32 exec_lo, exec_lo, s2
	s_wait_loadcnt_dscnt 0x0
	s_barrier_signal -1
	s_barrier_wait -1
	global_inv scope:SCOPE_SE
	ds_load_b32 v34, v22
	v_sub_nc_u32_e32 v32, v33, v32
	s_wait_dscnt 0x0
	s_delay_alu instid0(VALU_DEP_1) | instskip(NEXT) | instid1(VALU_DEP_1)
	v_add_nc_u32_e32 v32, v34, v32
	v_add_nc_u32_e32 v31, v32, v31
	s_and_saveexec_b32 s2, s1
	s_cbranch_execz .LBB0_2
; %bb.8:                                ;   in Loop: Header=BB0_3 Depth=1
	s_delay_alu instid0(VALU_DEP_1)
	v_add_nc_u32_e32 v33, v31, v28
	ds_store_b32 v23, v33 offset:2048
	s_branch .LBB0_2
.LBB0_9:
	v_add_co_u32 v5, vcc_lo, s6, v5
	s_wait_alu 0xfffd
	v_add_co_ci_u32_e64 v6, null, s7, v6, vcc_lo
	global_store_b128 v[5:6], v[1:4], off
	s_endpgm
	.section	.rodata,"a",@progbits
	.p2align	6, 0x0
	.amdhsa_kernel _Z20radixSortBlocksKeysKPjS_jj
		.amdhsa_group_segment_fixed_size 2052
		.amdhsa_private_segment_fixed_size 0
		.amdhsa_kernarg_size 280
		.amdhsa_user_sgpr_count 2
		.amdhsa_user_sgpr_dispatch_ptr 0
		.amdhsa_user_sgpr_queue_ptr 0
		.amdhsa_user_sgpr_kernarg_segment_ptr 1
		.amdhsa_user_sgpr_dispatch_id 0
		.amdhsa_user_sgpr_private_segment_size 0
		.amdhsa_wavefront_size32 1
		.amdhsa_uses_dynamic_stack 0
		.amdhsa_enable_private_segment 0
		.amdhsa_system_sgpr_workgroup_id_x 1
		.amdhsa_system_sgpr_workgroup_id_y 0
		.amdhsa_system_sgpr_workgroup_id_z 0
		.amdhsa_system_sgpr_workgroup_info 0
		.amdhsa_system_vgpr_workitem_id 0
		.amdhsa_next_free_vgpr 38
		.amdhsa_next_free_sgpr 10
		.amdhsa_reserve_vcc 1
		.amdhsa_float_round_mode_32 0
		.amdhsa_float_round_mode_16_64 0
		.amdhsa_float_denorm_mode_32 3
		.amdhsa_float_denorm_mode_16_64 3
		.amdhsa_fp16_overflow 0
		.amdhsa_workgroup_processor_mode 1
		.amdhsa_memory_ordered 1
		.amdhsa_forward_progress 1
		.amdhsa_inst_pref_size 12
		.amdhsa_round_robin_scheduling 0
		.amdhsa_exception_fp_ieee_invalid_op 0
		.amdhsa_exception_fp_denorm_src 0
		.amdhsa_exception_fp_ieee_div_zero 0
		.amdhsa_exception_fp_ieee_overflow 0
		.amdhsa_exception_fp_ieee_underflow 0
		.amdhsa_exception_fp_ieee_inexact 0
		.amdhsa_exception_int_div_zero 0
	.end_amdhsa_kernel
	.text
.Lfunc_end0:
	.size	_Z20radixSortBlocksKeysKPjS_jj, .Lfunc_end0-_Z20radixSortBlocksKeysKPjS_jj
                                        ; -- End function
	.set _Z20radixSortBlocksKeysKPjS_jj.num_vgpr, 38
	.set _Z20radixSortBlocksKeysKPjS_jj.num_agpr, 0
	.set _Z20radixSortBlocksKeysKPjS_jj.numbered_sgpr, 10
	.set _Z20radixSortBlocksKeysKPjS_jj.num_named_barrier, 0
	.set _Z20radixSortBlocksKeysKPjS_jj.private_seg_size, 0
	.set _Z20radixSortBlocksKeysKPjS_jj.uses_vcc, 1
	.set _Z20radixSortBlocksKeysKPjS_jj.uses_flat_scratch, 0
	.set _Z20radixSortBlocksKeysKPjS_jj.has_dyn_sized_stack, 0
	.set _Z20radixSortBlocksKeysKPjS_jj.has_recursion, 0
	.set _Z20radixSortBlocksKeysKPjS_jj.has_indirect_call, 0
	.section	.AMDGPU.csdata,"",@progbits
; Kernel info:
; codeLenInByte = 1512
; TotalNumSgprs: 12
; NumVgprs: 38
; ScratchSize: 0
; MemoryBound: 0
; FloatMode: 240
; IeeeMode: 1
; LDSByteSize: 2052 bytes/workgroup (compile time only)
; SGPRBlocks: 0
; VGPRBlocks: 4
; NumSGPRsForWavesPerEU: 12
; NumVGPRsForWavesPerEU: 38
; Occupancy: 16
; WaveLimiterHint : 0
; COMPUTE_PGM_RSRC2:SCRATCH_EN: 0
; COMPUTE_PGM_RSRC2:USER_SGPR: 2
; COMPUTE_PGM_RSRC2:TRAP_HANDLER: 0
; COMPUTE_PGM_RSRC2:TGID_X_EN: 1
; COMPUTE_PGM_RSRC2:TGID_Y_EN: 0
; COMPUTE_PGM_RSRC2:TGID_Z_EN: 0
; COMPUTE_PGM_RSRC2:TIDIG_COMP_CNT: 0
	.text
	.p2alignl 7, 3214868480
	.fill 96, 4, 3214868480
	.section	.AMDGPU.gpr_maximums,"",@progbits
	.set amdgpu.max_num_vgpr, 0
	.set amdgpu.max_num_agpr, 0
	.set amdgpu.max_num_sgpr, 0
	.text
	.type	__hip_cuid_27ed520f5c51622e,@object ; @__hip_cuid_27ed520f5c51622e
	.section	.bss,"aw",@nobits
	.globl	__hip_cuid_27ed520f5c51622e
__hip_cuid_27ed520f5c51622e:
	.byte	0                               ; 0x0
	.size	__hip_cuid_27ed520f5c51622e, 1

	.ident	"AMD clang version 22.0.0git (https://github.com/RadeonOpenCompute/llvm-project roc-7.2.4 26084 f58b06dce1f9c15707c5f808fd002e18c2accf7e)"
	.section	".note.GNU-stack","",@progbits
	.addrsig
	.addrsig_sym __hip_cuid_27ed520f5c51622e
	.amdgpu_metadata
---
amdhsa.kernels:
  - .args:
      - .address_space:  global
        .offset:         0
        .size:           8
        .value_kind:     global_buffer
      - .address_space:  global
        .offset:         8
        .size:           8
        .value_kind:     global_buffer
      - .offset:         16
        .size:           4
        .value_kind:     by_value
      - .offset:         20
        .size:           4
        .value_kind:     by_value
      - .offset:         24
        .size:           4
        .value_kind:     hidden_block_count_x
      - .offset:         28
        .size:           4
        .value_kind:     hidden_block_count_y
      - .offset:         32
        .size:           4
        .value_kind:     hidden_block_count_z
      - .offset:         36
        .size:           2
        .value_kind:     hidden_group_size_x
      - .offset:         38
        .size:           2
        .value_kind:     hidden_group_size_y
      - .offset:         40
        .size:           2
        .value_kind:     hidden_group_size_z
      - .offset:         42
        .size:           2
        .value_kind:     hidden_remainder_x
      - .offset:         44
        .size:           2
        .value_kind:     hidden_remainder_y
      - .offset:         46
        .size:           2
        .value_kind:     hidden_remainder_z
      - .offset:         64
        .size:           8
        .value_kind:     hidden_global_offset_x
      - .offset:         72
        .size:           8
        .value_kind:     hidden_global_offset_y
      - .offset:         80
        .size:           8
        .value_kind:     hidden_global_offset_z
      - .offset:         88
        .size:           2
        .value_kind:     hidden_grid_dims
    .group_segment_fixed_size: 2052
    .kernarg_segment_align: 8
    .kernarg_segment_size: 280
    .language:       OpenCL C
    .language_version:
      - 2
      - 0
    .max_flat_workgroup_size: 1024
    .name:           _Z20radixSortBlocksKeysKPjS_jj
    .private_segment_fixed_size: 0
    .sgpr_count:     12
    .sgpr_spill_count: 0
    .symbol:         _Z20radixSortBlocksKeysKPjS_jj.kd
    .uniform_work_group_size: 1
    .uses_dynamic_stack: false
    .vgpr_count:     38
    .vgpr_spill_count: 0
    .wavefront_size: 32
    .workgroup_processor_mode: 1
amdhsa.target:   amdgcn-amd-amdhsa--gfx1201
amdhsa.version:
  - 1
  - 2
...

	.end_amdgpu_metadata
